;; amdgpu-corpus repo=zjin-lcf/HeCBench kind=compiled arch=gfx1250 opt=O3
	.amdgcn_target "amdgcn-amd-amdhsa--gfx1250"
	.amdhsa_code_object_version 6
	.text
	.protected	_Z19RANSAC_kernel_blockPKfPK10flowvectoriiifPiS4_S4_ ; -- Begin function _Z19RANSAC_kernel_blockPKfPK10flowvectoriiifPiS4_S4_
	.globl	_Z19RANSAC_kernel_blockPKfPK10flowvectoriiifPiS4_S4_
	.p2align	8
	.type	_Z19RANSAC_kernel_blockPKfPK10flowvectoriiifPiS4_S4_,@function
_Z19RANSAC_kernel_blockPKfPK10flowvectoriiifPiS4_S4_: ; @_Z19RANSAC_kernel_blockPKfPK10flowvectoriiifPiS4_S4_
; %bb.0:
	s_load_b128 s[4:7], s[0:1], 0x10
	s_bfe_u32 s2, ttmp6, 0x4000c
	s_and_b32 s3, ttmp6, 15
	s_add_co_i32 s2, s2, 1
	s_getreg_b32 s8, hwreg(HW_REG_IB_STS2, 6, 4)
	s_mul_i32 s2, ttmp9, s2
	s_delay_alu instid0(SALU_CYCLE_1)
	s_add_co_i32 s3, s3, s2
	s_cmp_eq_u32 s8, 0
	s_cselect_b32 s19, ttmp9, s3
	s_wait_kmcnt 0x0
	s_cmp_ge_i32 s19, s5
	s_cbranch_scc1 .LBB0_24
; %bb.1:
	s_clause 0x2
	s_load_b128 s[8:11], s[0:1], 0x0
	s_load_b128 s[12:15], s[0:1], 0x20
	s_load_b96 s[16:18], s[0:1], 0x30
	s_cvt_f32_i32 s20, s4
	v_cmp_eq_u32_e64 s2, 0, v0
	v_cmp_gt_i32_e64 s3, s4, v0
	v_mov_b32_e32 v1, 0
	s_cvt_f32_i32 s22, s6
	s_mul_f32 s23, s7, s20
	s_wait_xcnt 0x0
	s_add_nc_u64 s[0:1], s[0:1], 56
	s_branch .LBB0_5
.LBB0_2:                                ;   in Loop: Header=BB0_5 Depth=1
	s_wait_xcnt 0x0
	s_or_b32 exec_lo, exec_lo, s7
	s_wait_loadcnt 0x0
	v_readfirstlane_b32 s7, v4
	s_delay_alu instid0(VALU_DEP_1)
	v_dual_mov_b32 v4, s19 :: v_dual_add_nc_u32 v3, s7, v3
	s_clause 0x1
	global_store_b32 v3, v4, s[14:15] scale_offset
	global_store_b32 v3, v2, s[16:17] scale_offset
.LBB0_3:                                ;   in Loop: Header=BB0_5 Depth=1
	s_wait_xcnt 0x0
	s_or_b32 exec_lo, exec_lo, s6
.LBB0_4:                                ;   in Loop: Header=BB0_5 Depth=1
	s_add_co_i32 s19, s19, s18
	s_delay_alu instid0(SALU_CYCLE_1)
	s_cmp_ge_i32 s19, s5
	s_cbranch_scc1 .LBB0_24
.LBB0_5:                                ; =>This Loop Header: Depth=1
                                        ;     Child Loop BB0_11 Depth 2
                                        ;     Child Loop BB0_17 Depth 2
	s_wait_xcnt 0x0
	s_and_saveexec_b32 s6, s2
; %bb.6:                                ;   in Loop: Header=BB0_5 Depth=1
	ds_store_b32 v1, v1
; %bb.7:                                ;   in Loop: Header=BB0_5 Depth=1
	s_or_b32 exec_lo, exec_lo, s6
	s_lshl_b32 s6, s19, 2
	s_wait_dscnt 0x0
	s_ashr_i32 s7, s6, 31
	s_barrier_signal -1
	s_lshl_b64 s[6:7], s[6:7], 2
	s_barrier_wait -1
	s_wait_kmcnt 0x0
	s_add_nc_u64 s[6:7], s[8:9], s[6:7]
	s_load_b32 s20, s[6:7], 0x0
	s_wait_kmcnt 0x0
	s_cmp_eq_f32 s20, 0xc4fb6000
	s_cbranch_scc1 .LBB0_4
; %bb.8:                                ;   in Loop: Header=BB0_5 Depth=1
	v_mov_b32_e32 v5, 0
	s_and_saveexec_b32 s24, s3
	s_cbranch_execz .LBB0_16
; %bb.9:                                ;   in Loop: Header=BB0_5 Depth=1
	s_load_b96 s[28:30], s[6:7], 0x4
	s_load_b32 s25, s[0:1], 0xc
	v_dual_mov_b32 v5, 0 :: v_dual_mov_b32 v10, v0
	s_wait_kmcnt 0x0
	s_wait_xcnt 0x0
	s_mov_b32 s6, s29
	s_mov_b32 s21, s28
	;; [unrolled: 1-line block ×3, first 2 shown]
	v_mov_b64_e32 v[6:7], s[20:21]
	v_mov_b64_e32 v[8:9], s[6:7]
	s_and_b32 s7, s25, 0xffff
	s_mov_b32 s21, s30
	s_mov_b32 s20, 0
	s_branch .LBB0_11
.LBB0_10:                               ;   in Loop: Header=BB0_11 Depth=2
	s_or_b32 exec_lo, exec_lo, s26
	v_add_nc_u32_e32 v10, s7, v10
	s_delay_alu instid0(VALU_DEP_1) | instskip(SKIP_1) | instid1(SALU_CYCLE_1)
	v_cmp_le_i32_e32 vcc_lo, s4, v10
	s_or_b32 s20, vcc_lo, s20
	s_and_not1_b32 exec_lo, exec_lo, s20
	s_cbranch_execz .LBB0_15
.LBB0_11:                               ;   Parent Loop BB0_5 Depth=1
                                        ; =>  This Inner Loop Header: Depth=2
	v_ashrrev_i32_e32 v11, 31, v10
	s_mov_b32 s26, exec_lo
	s_delay_alu instid0(VALU_DEP_1) | instskip(SKIP_4) | instid1(VALU_DEP_1)
	v_lshl_add_u64 v[12:13], v[10:11], 4, s[10:11]
	global_load_b96 v[2:4], v[12:13], off
	s_wait_loadcnt 0x0
	v_cvt_f32_i32_e32 v15, v3
	v_cvt_f32_i32_e32 v14, v2
	v_pk_add_f32 v[14:15], v[14:15], v[6:7] neg_lo:[0,1] neg_hi:[0,1]
	s_delay_alu instid0(VALU_DEP_1) | instskip(NEXT) | instid1(VALU_DEP_1)
	v_pk_mul_f32 v[16:17], v[14:15], v[8:9]
	v_cvt_i32_f32_e32 v11, v17
	s_delay_alu instid0(VALU_DEP_2) | instskip(NEXT) | instid1(VALU_DEP_1)
	v_cvt_i32_f32_e32 v16, v16
	v_dual_add_nc_u32 v4, v4, v11 :: v_dual_add_nc_u32 v2, v2, v16
	s_delay_alu instid0(VALU_DEP_1) | instskip(NEXT) | instid1(VALU_DEP_1)
	v_sub_nc_u32_e32 v2, v2, v4
	v_cvt_f32_i32_e32 v2, v2
	s_delay_alu instid0(VALU_DEP_1)
	v_cmp_ge_f32_e64 s25, |v2|, s22
	s_wait_xcnt 0x0
	v_cmpx_nge_f32_e64 |v2|, s22
	s_cbranch_execz .LBB0_13
; %bb.12:                               ;   in Loop: Header=BB0_11 Depth=2
	global_load_b32 v2, v[12:13], off offset:12
	v_dual_mul_f32 v4, s6, v15 :: v_dual_mul_f32 v11, s21, v14
	s_and_not1_b32 s25, s25, exec_lo
	s_delay_alu instid0(VALU_DEP_1) | instskip(NEXT) | instid1(VALU_DEP_2)
	v_cvt_i32_f32_e32 v4, v4
	v_cvt_i32_f32_e32 v11, v11
	s_delay_alu instid0(VALU_DEP_1) | instskip(SKIP_1) | instid1(VALU_DEP_1)
	v_add3_u32 v3, v3, v11, v4
	s_wait_loadcnt 0x0
	v_sub_nc_u32_e32 v2, v3, v2
	s_delay_alu instid0(VALU_DEP_1) | instskip(NEXT) | instid1(VALU_DEP_1)
	v_cvt_f32_i32_e32 v2, v2
	v_cmp_ge_f32_e64 s27, |v2|, s22
	s_and_b32 s27, s27, exec_lo
	s_delay_alu instid0(SALU_CYCLE_1)
	s_or_b32 s25, s25, s27
.LBB0_13:                               ;   in Loop: Header=BB0_11 Depth=2
	s_wait_xcnt 0x0
	s_or_b32 exec_lo, exec_lo, s26
	s_and_saveexec_b32 s26, s25
	s_cbranch_execz .LBB0_10
; %bb.14:                               ;   in Loop: Header=BB0_11 Depth=2
	v_add_nc_u32_e32 v5, 1, v5
	s_branch .LBB0_10
.LBB0_15:                               ;   in Loop: Header=BB0_5 Depth=1
	s_or_b32 exec_lo, exec_lo, s20
.LBB0_16:                               ;   in Loop: Header=BB0_5 Depth=1
	s_delay_alu instid0(SALU_CYCLE_1)
	s_or_b32 exec_lo, exec_lo, s24
	s_wait_xcnt 0x0
	s_mov_b32 s7, exec_lo
	s_mov_b32 s6, 0
.LBB0_17:                               ;   Parent Loop BB0_5 Depth=1
                                        ; =>  This Inner Loop Header: Depth=2
	s_ctz_i32_b32 s20, s7
	s_delay_alu instid0(SALU_CYCLE_1) | instskip(SKIP_1) | instid1(SALU_CYCLE_1)
	v_readlane_b32 s21, v5, s20
	s_lshl_b32 s20, 1, s20
	s_and_not1_b32 s7, s7, s20
	s_add_co_i32 s6, s6, s21
	s_cmp_lg_u32 s7, 0
	s_cbranch_scc1 .LBB0_17
; %bb.18:                               ;   in Loop: Header=BB0_5 Depth=1
	v_mbcnt_lo_u32_b32 v2, exec_lo, 0
	s_mov_b32 s7, exec_lo
	s_delay_alu instid0(VALU_DEP_1)
	v_cmpx_eq_u32_e32 0, v2
	s_xor_b32 s7, exec_lo, s7
; %bb.19:                               ;   in Loop: Header=BB0_5 Depth=1
	v_mov_b32_e32 v2, s6
	ds_add_u32 v1, v2
; %bb.20:                               ;   in Loop: Header=BB0_5 Depth=1
	s_or_b32 exec_lo, exec_lo, s7
	s_wait_dscnt 0x0
	s_barrier_signal -1
	s_barrier_wait -1
	s_and_saveexec_b32 s6, s2
	s_cbranch_execz .LBB0_3
; %bb.21:                               ;   in Loop: Header=BB0_5 Depth=1
	ds_load_b32 v2, v1
	s_wait_dscnt 0x0
	v_cvt_f32_i32_e32 v3, v2
	s_delay_alu instid0(VALU_DEP_1)
	v_cmp_ngt_f32_e32 vcc_lo, s23, v3
	s_cbranch_vccnz .LBB0_3
; %bb.22:                               ;   in Loop: Header=BB0_5 Depth=1
	s_mov_b32 s20, exec_lo
	s_mov_b32 s7, exec_lo
	v_mbcnt_lo_u32_b32 v3, s20, 0
                                        ; implicit-def: $vgpr4
	s_delay_alu instid0(VALU_DEP_1)
	v_cmpx_eq_u32_e32 0, v3
	s_cbranch_execz .LBB0_2
; %bb.23:                               ;   in Loop: Header=BB0_5 Depth=1
	s_bcnt1_i32_b32 s20, s20
	s_delay_alu instid0(SALU_CYCLE_1)
	v_mov_b32_e32 v4, s20
	global_atomic_add_u32 v4, v1, v4, s[12:13] th:TH_ATOMIC_RETURN scope:SCOPE_DEV
	s_branch .LBB0_2
.LBB0_24:
	s_endpgm
	.section	.rodata,"a",@progbits
	.p2align	6, 0x0
	.amdhsa_kernel _Z19RANSAC_kernel_blockPKfPK10flowvectoriiifPiS4_S4_
		.amdhsa_group_segment_fixed_size 0
		.amdhsa_private_segment_fixed_size 0
		.amdhsa_kernarg_size 312
		.amdhsa_user_sgpr_count 2
		.amdhsa_user_sgpr_dispatch_ptr 0
		.amdhsa_user_sgpr_queue_ptr 0
		.amdhsa_user_sgpr_kernarg_segment_ptr 1
		.amdhsa_user_sgpr_dispatch_id 0
		.amdhsa_user_sgpr_kernarg_preload_length 0
		.amdhsa_user_sgpr_kernarg_preload_offset 0
		.amdhsa_user_sgpr_private_segment_size 0
		.amdhsa_wavefront_size32 1
		.amdhsa_uses_dynamic_stack 0
		.amdhsa_enable_private_segment 0
		.amdhsa_system_sgpr_workgroup_id_x 1
		.amdhsa_system_sgpr_workgroup_id_y 0
		.amdhsa_system_sgpr_workgroup_id_z 0
		.amdhsa_system_sgpr_workgroup_info 0
		.amdhsa_system_vgpr_workitem_id 0
		.amdhsa_next_free_vgpr 18
		.amdhsa_next_free_sgpr 31
		.amdhsa_named_barrier_count 0
		.amdhsa_reserve_vcc 1
		.amdhsa_float_round_mode_32 0
		.amdhsa_float_round_mode_16_64 0
		.amdhsa_float_denorm_mode_32 3
		.amdhsa_float_denorm_mode_16_64 3
		.amdhsa_fp16_overflow 0
		.amdhsa_memory_ordered 1
		.amdhsa_forward_progress 1
		.amdhsa_inst_pref_size 7
		.amdhsa_round_robin_scheduling 0
		.amdhsa_exception_fp_ieee_invalid_op 0
		.amdhsa_exception_fp_denorm_src 0
		.amdhsa_exception_fp_ieee_div_zero 0
		.amdhsa_exception_fp_ieee_overflow 0
		.amdhsa_exception_fp_ieee_underflow 0
		.amdhsa_exception_fp_ieee_inexact 0
		.amdhsa_exception_int_div_zero 0
	.end_amdhsa_kernel
	.text
.Lfunc_end0:
	.size	_Z19RANSAC_kernel_blockPKfPK10flowvectoriiifPiS4_S4_, .Lfunc_end0-_Z19RANSAC_kernel_blockPKfPK10flowvectoriiifPiS4_S4_
                                        ; -- End function
	.set _Z19RANSAC_kernel_blockPKfPK10flowvectoriiifPiS4_S4_.num_vgpr, 18
	.set _Z19RANSAC_kernel_blockPKfPK10flowvectoriiifPiS4_S4_.num_agpr, 0
	.set _Z19RANSAC_kernel_blockPKfPK10flowvectoriiifPiS4_S4_.numbered_sgpr, 31
	.set _Z19RANSAC_kernel_blockPKfPK10flowvectoriiifPiS4_S4_.num_named_barrier, 0
	.set _Z19RANSAC_kernel_blockPKfPK10flowvectoriiifPiS4_S4_.private_seg_size, 0
	.set _Z19RANSAC_kernel_blockPKfPK10flowvectoriiifPiS4_S4_.uses_vcc, 1
	.set _Z19RANSAC_kernel_blockPKfPK10flowvectoriiifPiS4_S4_.uses_flat_scratch, 0
	.set _Z19RANSAC_kernel_blockPKfPK10flowvectoriiifPiS4_S4_.has_dyn_sized_stack, 0
	.set _Z19RANSAC_kernel_blockPKfPK10flowvectoriiifPiS4_S4_.has_recursion, 0
	.set _Z19RANSAC_kernel_blockPKfPK10flowvectoriiifPiS4_S4_.has_indirect_call, 0
	.section	.AMDGPU.csdata,"",@progbits
; Kernel info:
; codeLenInByte = 844
; TotalNumSgprs: 33
; NumVgprs: 18
; ScratchSize: 0
; MemoryBound: 0
; FloatMode: 240
; IeeeMode: 1
; LDSByteSize: 0 bytes/workgroup (compile time only)
; SGPRBlocks: 0
; VGPRBlocks: 1
; NumSGPRsForWavesPerEU: 33
; NumVGPRsForWavesPerEU: 18
; NamedBarCnt: 0
; Occupancy: 16
; WaveLimiterHint : 0
; COMPUTE_PGM_RSRC2:SCRATCH_EN: 0
; COMPUTE_PGM_RSRC2:USER_SGPR: 2
; COMPUTE_PGM_RSRC2:TRAP_HANDLER: 0
; COMPUTE_PGM_RSRC2:TGID_X_EN: 1
; COMPUTE_PGM_RSRC2:TGID_Y_EN: 0
; COMPUTE_PGM_RSRC2:TGID_Z_EN: 0
; COMPUTE_PGM_RSRC2:TIDIG_COMP_CNT: 0
	.text
	.p2alignl 7, 3214868480
	.fill 96, 4, 3214868480
	.section	.AMDGPU.gpr_maximums,"",@progbits
	.set amdgpu.max_num_vgpr, 0
	.set amdgpu.max_num_agpr, 0
	.set amdgpu.max_num_sgpr, 0
	.text
	.type	__hip_cuid_91a0fca095fe73fe,@object ; @__hip_cuid_91a0fca095fe73fe
	.section	.bss,"aw",@nobits
	.globl	__hip_cuid_91a0fca095fe73fe
__hip_cuid_91a0fca095fe73fe:
	.byte	0                               ; 0x0
	.size	__hip_cuid_91a0fca095fe73fe, 1

	.ident	"AMD clang version 22.0.0git (https://github.com/RadeonOpenCompute/llvm-project roc-7.2.4 26084 f58b06dce1f9c15707c5f808fd002e18c2accf7e)"
	.section	".note.GNU-stack","",@progbits
	.addrsig
	.addrsig_sym l_mem
	.addrsig_sym __hip_cuid_91a0fca095fe73fe
	.amdgpu_metadata
---
amdhsa.kernels:
  - .args:
      - .actual_access:  read_only
        .address_space:  global
        .offset:         0
        .size:           8
        .value_kind:     global_buffer
      - .actual_access:  read_only
        .address_space:  global
        .offset:         8
        .size:           8
        .value_kind:     global_buffer
      - .offset:         16
        .size:           4
        .value_kind:     by_value
      - .offset:         20
        .size:           4
        .value_kind:     by_value
      - .offset:         24
        .size:           4
        .value_kind:     by_value
      - .offset:         28
        .size:           4
        .value_kind:     by_value
      - .address_space:  global
        .offset:         32
        .size:           8
        .value_kind:     global_buffer
      - .actual_access:  write_only
        .address_space:  global
        .offset:         40
        .size:           8
        .value_kind:     global_buffer
      - .actual_access:  write_only
        .address_space:  global
        .offset:         48
        .size:           8
        .value_kind:     global_buffer
      - .offset:         56
        .size:           4
        .value_kind:     hidden_block_count_x
      - .offset:         60
        .size:           4
        .value_kind:     hidden_block_count_y
      - .offset:         64
        .size:           4
        .value_kind:     hidden_block_count_z
      - .offset:         68
        .size:           2
        .value_kind:     hidden_group_size_x
      - .offset:         70
        .size:           2
        .value_kind:     hidden_group_size_y
      - .offset:         72
        .size:           2
        .value_kind:     hidden_group_size_z
      - .offset:         74
        .size:           2
        .value_kind:     hidden_remainder_x
      - .offset:         76
        .size:           2
        .value_kind:     hidden_remainder_y
      - .offset:         78
        .size:           2
        .value_kind:     hidden_remainder_z
      - .offset:         96
        .size:           8
        .value_kind:     hidden_global_offset_x
      - .offset:         104
        .size:           8
        .value_kind:     hidden_global_offset_y
      - .offset:         112
        .size:           8
        .value_kind:     hidden_global_offset_z
      - .offset:         120
        .size:           2
        .value_kind:     hidden_grid_dims
      - .offset:         176
        .size:           4
        .value_kind:     hidden_dynamic_lds_size
    .group_segment_fixed_size: 0
    .kernarg_segment_align: 8
    .kernarg_segment_size: 312
    .language:       OpenCL C
    .language_version:
      - 2
      - 0
    .max_flat_workgroup_size: 1024
    .name:           _Z19RANSAC_kernel_blockPKfPK10flowvectoriiifPiS4_S4_
    .private_segment_fixed_size: 0
    .sgpr_count:     33
    .sgpr_spill_count: 0
    .symbol:         _Z19RANSAC_kernel_blockPKfPK10flowvectoriiifPiS4_S4_.kd
    .uniform_work_group_size: 1
    .uses_dynamic_stack: false
    .vgpr_count:     18
    .vgpr_spill_count: 0
    .wavefront_size: 32
amdhsa.target:   amdgcn-amd-amdhsa--gfx1250
amdhsa.version:
  - 1
  - 2
...

	.end_amdgpu_metadata
